;; amdgpu-corpus repo=ROCm/rocFFT kind=compiled arch=gfx906 opt=O3
	.text
	.amdgcn_target "amdgcn-amd-amdhsa--gfx906"
	.amdhsa_code_object_version 6
	.protected	fft_rtc_back_len256_factors_8_4_8_wgs_256_tpt_32_dp_op_CI_CI_sbcc_twdbase8_3step_dirReg ; -- Begin function fft_rtc_back_len256_factors_8_4_8_wgs_256_tpt_32_dp_op_CI_CI_sbcc_twdbase8_3step_dirReg
	.globl	fft_rtc_back_len256_factors_8_4_8_wgs_256_tpt_32_dp_op_CI_CI_sbcc_twdbase8_3step_dirReg
	.p2align	8
	.type	fft_rtc_back_len256_factors_8_4_8_wgs_256_tpt_32_dp_op_CI_CI_sbcc_twdbase8_3step_dirReg,@function
fft_rtc_back_len256_factors_8_4_8_wgs_256_tpt_32_dp_op_CI_CI_sbcc_twdbase8_3step_dirReg: ; @fft_rtc_back_len256_factors_8_4_8_wgs_256_tpt_32_dp_op_CI_CI_sbcc_twdbase8_3step_dirReg
; %bb.0:
	s_load_dwordx4 s[0:3], s[4:5], 0x18
	s_load_dwordx2 s[30:31], s[4:5], 0x28
	s_mov_b32 s7, 0
	s_mov_b64 s[24:25], 0
	s_waitcnt lgkmcnt(0)
	s_load_dwordx2 s[28:29], s[0:1], 0x8
	s_waitcnt lgkmcnt(0)
	s_add_u32 s8, s28, -1
	s_addc_u32 s9, s29, -1
	s_lshr_b64 s[8:9], s[8:9], 3
	s_add_u32 s34, s8, 1
	s_addc_u32 s35, s9, 0
	v_mov_b32_e32 v1, s34
	v_mov_b32_e32 v2, s35
	v_cmp_lt_u64_e32 vcc, s[6:7], v[1:2]
	s_cbranch_vccnz .LBB0_2
; %bb.1:
	v_cvt_f32_u32_e32 v1, s34
	s_sub_i32 s8, 0, s34
	s_mov_b32 s25, s7
	v_rcp_iflag_f32_e32 v1, v1
	v_mul_f32_e32 v1, 0x4f7ffffe, v1
	v_cvt_u32_f32_e32 v1, v1
	v_readfirstlane_b32 s9, v1
	s_mul_i32 s8, s8, s9
	s_mul_hi_u32 s8, s9, s8
	s_add_i32 s9, s9, s8
	s_mul_hi_u32 s8, s6, s9
	s_mul_i32 s10, s8, s34
	s_sub_i32 s10, s6, s10
	s_add_i32 s9, s8, 1
	s_sub_i32 s11, s10, s34
	s_cmp_ge_u32 s10, s34
	s_cselect_b32 s8, s9, s8
	s_cselect_b32 s10, s11, s10
	s_add_i32 s9, s8, 1
	s_cmp_ge_u32 s10, s34
	s_cselect_b32 s24, s9, s8
.LBB0_2:
	s_mul_i32 s16, s24, s35
	s_mul_hi_u32 s17, s24, s34
	s_load_dwordx4 s[12:15], s[4:5], 0x60
	s_load_dwordx4 s[20:23], s[2:3], 0x0
	;; [unrolled: 1-line block ×3, first 2 shown]
	s_add_i32 s17, s17, s16
	s_mul_i32 s16, s24, s34
	s_sub_u32 s36, s6, s16
	s_subb_u32 s37, 0, s17
	v_mov_b32_e32 v1, s36
	v_alignbit_b32 v1, s37, v1, 29
	s_waitcnt lgkmcnt(0)
	v_mul_lo_u32 v2, s22, v1
	s_load_dwordx2 s[26:27], s[4:5], 0x0
	s_load_dwordx4 s[16:19], s[4:5], 0x8
	s_lshl_b64 s[4:5], s[36:37], 3
	s_mul_hi_u32 s33, s22, s4
	v_mul_lo_u32 v1, s10, v1
	v_add_u32_e32 v2, s33, v2
	s_mul_i32 s33, s23, s4
	v_add_u32_e32 v3, s33, v2
	s_mul_i32 s33, s22, s4
	v_mov_b32_e32 v4, s33
	s_mul_hi_u32 s33, s10, s4
	v_add_u32_e32 v1, s33, v1
	s_mul_i32 s33, s11, s4
	s_waitcnt lgkmcnt(0)
	v_cmp_lt_u64_e64 s[36:37], s[18:19], 3
	v_add_u32_e32 v49, s33, v1
	s_mul_i32 s33, s10, s4
	v_mov_b32_e32 v48, s33
	s_and_b64 vcc, exec, s[36:37]
	s_cbranch_vccnz .LBB0_11
; %bb.3:
	s_add_u32 s36, s30, 16
	s_addc_u32 s37, s31, 0
	s_add_u32 s38, s2, 16
	s_addc_u32 s39, s3, 0
	s_add_u32 s40, s0, 16
	v_mov_b32_e32 v1, s18
	s_addc_u32 s41, s1, 0
	s_mov_b64 s[42:43], 2
	s_mov_b32 s44, 0
	v_mov_b32_e32 v2, s19
	s_branch .LBB0_5
.LBB0_4:                                ;   in Loop: Header=BB0_5 Depth=1
	s_mul_i32 s33, s46, s35
	s_mul_hi_u32 s35, s46, s34
	s_add_i32 s33, s35, s33
	s_mul_i32 s35, s47, s34
	s_add_i32 s35, s33, s35
	s_mul_i32 s33, s0, s47
	s_mul_hi_u32 s45, s0, s46
	s_load_dwordx2 s[48:49], s[38:39], 0x0
	s_add_i32 s33, s45, s33
	s_mul_i32 s45, s1, s46
	s_add_i32 s33, s33, s45
	s_mul_i32 s45, s0, s46
	s_sub_u32 s45, s24, s45
	s_subb_u32 s33, s25, s33
	s_waitcnt lgkmcnt(0)
	s_mul_i32 s24, s48, s33
	s_mul_hi_u32 s25, s48, s45
	s_add_i32 s24, s25, s24
	s_mul_i32 s25, s49, s45
	s_add_i32 s24, s24, s25
	v_mov_b32_e32 v5, s24
	s_load_dwordx2 s[24:25], s[36:37], 0x0
	s_mul_i32 s34, s46, s34
	s_mul_i32 s46, s48, s45
	v_add_co_u32_e32 v4, vcc, s46, v4
	s_waitcnt lgkmcnt(0)
	s_mul_i32 s33, s24, s33
	s_mul_hi_u32 s46, s24, s45
	s_add_i32 s33, s46, s33
	s_mul_i32 s25, s25, s45
	s_add_i32 s25, s33, s25
	s_add_u32 s42, s42, 1
	s_addc_u32 s43, s43, 0
	v_addc_co_u32_e32 v3, vcc, v5, v3, vcc
	s_mul_i32 s24, s24, s45
	s_add_u32 s36, s36, 8
	v_mov_b32_e32 v5, s25
	v_add_co_u32_e32 v48, vcc, s24, v48
	s_addc_u32 s37, s37, 0
	v_addc_co_u32_e32 v49, vcc, v5, v49, vcc
	s_add_u32 s38, s38, 8
	s_addc_u32 s39, s39, 0
	v_cmp_ge_u64_e32 vcc, s[42:43], v[1:2]
	s_add_u32 s40, s40, 8
	s_addc_u32 s41, s41, 0
	s_mov_b64 s[24:25], s[0:1]
	s_cbranch_vccnz .LBB0_9
.LBB0_5:                                ; =>This Inner Loop Header: Depth=1
	s_load_dwordx2 s[46:47], s[40:41], 0x0
	s_waitcnt lgkmcnt(0)
	s_or_b64 s[0:1], s[24:25], s[46:47]
	s_mov_b32 s45, s1
	s_cmp_lg_u64 s[44:45], 0
	s_cbranch_scc0 .LBB0_7
; %bb.6:                                ;   in Loop: Header=BB0_5 Depth=1
	v_cvt_f32_u32_e32 v5, s46
	v_cvt_f32_u32_e32 v6, s47
	s_sub_u32 s0, 0, s46
	s_subb_u32 s1, 0, s47
	v_mac_f32_e32 v5, 0x4f800000, v6
	v_rcp_f32_e32 v5, v5
	v_mul_f32_e32 v5, 0x5f7ffffc, v5
	v_mul_f32_e32 v6, 0x2f800000, v5
	v_trunc_f32_e32 v6, v6
	v_mac_f32_e32 v5, 0xcf800000, v6
	v_cvt_u32_f32_e32 v6, v6
	v_cvt_u32_f32_e32 v5, v5
	v_readfirstlane_b32 s33, v6
	v_readfirstlane_b32 s45, v5
	s_mul_i32 s48, s0, s33
	s_mul_hi_u32 s50, s0, s45
	s_mul_i32 s49, s1, s45
	s_add_i32 s48, s50, s48
	s_mul_i32 s51, s0, s45
	s_add_i32 s48, s48, s49
	s_mul_hi_u32 s49, s45, s48
	s_mul_i32 s50, s45, s48
	s_mul_hi_u32 s45, s45, s51
	s_add_u32 s45, s45, s50
	s_addc_u32 s49, 0, s49
	s_mul_hi_u32 s52, s33, s51
	s_mul_i32 s51, s33, s51
	s_add_u32 s45, s45, s51
	s_mul_hi_u32 s50, s33, s48
	s_addc_u32 s45, s49, s52
	s_addc_u32 s49, s50, 0
	s_mul_i32 s48, s33, s48
	s_add_u32 s45, s45, s48
	s_addc_u32 s48, 0, s49
	v_add_co_u32_e32 v5, vcc, s45, v5
	s_cmp_lg_u64 vcc, 0
	s_addc_u32 s33, s33, s48
	v_readfirstlane_b32 s48, v5
	s_mul_i32 s45, s0, s33
	s_mul_hi_u32 s49, s0, s48
	s_add_i32 s45, s49, s45
	s_mul_i32 s1, s1, s48
	s_add_i32 s45, s45, s1
	s_mul_i32 s0, s0, s48
	s_mul_hi_u32 s49, s33, s0
	s_mul_i32 s50, s33, s0
	s_mul_i32 s52, s48, s45
	s_mul_hi_u32 s0, s48, s0
	s_mul_hi_u32 s51, s48, s45
	s_add_u32 s0, s0, s52
	s_addc_u32 s48, 0, s51
	s_add_u32 s0, s0, s50
	s_mul_hi_u32 s1, s33, s45
	s_addc_u32 s0, s48, s49
	s_addc_u32 s1, s1, 0
	s_mul_i32 s45, s33, s45
	s_add_u32 s0, s0, s45
	s_addc_u32 s1, 0, s1
	v_add_co_u32_e32 v5, vcc, s0, v5
	s_cmp_lg_u64 vcc, 0
	s_addc_u32 s0, s33, s1
	v_readfirstlane_b32 s45, v5
	s_mul_i32 s33, s24, s0
	s_mul_hi_u32 s48, s24, s45
	s_mul_hi_u32 s1, s24, s0
	s_add_u32 s33, s48, s33
	s_addc_u32 s1, 0, s1
	s_mul_hi_u32 s49, s25, s45
	s_mul_i32 s45, s25, s45
	s_add_u32 s33, s33, s45
	s_mul_hi_u32 s48, s25, s0
	s_addc_u32 s1, s1, s49
	s_addc_u32 s33, s48, 0
	s_mul_i32 s0, s25, s0
	s_add_u32 s45, s1, s0
	s_addc_u32 s33, 0, s33
	s_mul_i32 s0, s46, s33
	s_mul_hi_u32 s1, s46, s45
	s_add_i32 s0, s1, s0
	s_mul_i32 s1, s47, s45
	s_add_i32 s48, s0, s1
	s_mul_i32 s1, s46, s45
	v_mov_b32_e32 v5, s1
	s_sub_i32 s0, s25, s48
	v_sub_co_u32_e32 v5, vcc, s24, v5
	s_cmp_lg_u64 vcc, 0
	s_subb_u32 s49, s0, s47
	v_subrev_co_u32_e64 v6, s[0:1], s46, v5
	s_cmp_lg_u64 s[0:1], 0
	s_subb_u32 s0, s49, 0
	s_cmp_ge_u32 s0, s47
	v_readfirstlane_b32 s49, v6
	s_cselect_b32 s1, -1, 0
	s_cmp_ge_u32 s49, s46
	s_cselect_b32 s49, -1, 0
	s_cmp_eq_u32 s0, s47
	s_cselect_b32 s0, s49, s1
	s_add_u32 s1, s45, 1
	s_addc_u32 s49, s33, 0
	s_add_u32 s50, s45, 2
	s_addc_u32 s51, s33, 0
	s_cmp_lg_u32 s0, 0
	s_cselect_b32 s0, s50, s1
	s_cselect_b32 s1, s51, s49
	s_cmp_lg_u64 vcc, 0
	s_subb_u32 s48, s25, s48
	s_cmp_ge_u32 s48, s47
	v_readfirstlane_b32 s50, v5
	s_cselect_b32 s49, -1, 0
	s_cmp_ge_u32 s50, s46
	s_cselect_b32 s50, -1, 0
	s_cmp_eq_u32 s48, s47
	s_cselect_b32 s48, s50, s49
	s_cmp_lg_u32 s48, 0
	s_cselect_b32 s1, s1, s33
	s_cselect_b32 s0, s0, s45
	s_cbranch_execnz .LBB0_4
	s_branch .LBB0_8
.LBB0_7:                                ;   in Loop: Header=BB0_5 Depth=1
                                        ; implicit-def: $sgpr0_sgpr1
.LBB0_8:                                ;   in Loop: Header=BB0_5 Depth=1
	v_cvt_f32_u32_e32 v5, s46
	s_sub_i32 s0, 0, s46
	v_rcp_iflag_f32_e32 v5, v5
	v_mul_f32_e32 v5, 0x4f7ffffe, v5
	v_cvt_u32_f32_e32 v5, v5
	v_readfirstlane_b32 s1, v5
	s_mul_i32 s0, s0, s1
	s_mul_hi_u32 s0, s1, s0
	s_add_i32 s1, s1, s0
	s_mul_hi_u32 s0, s24, s1
	s_mul_i32 s33, s0, s46
	s_sub_i32 s33, s24, s33
	s_add_i32 s1, s0, 1
	s_sub_i32 s45, s33, s46
	s_cmp_ge_u32 s33, s46
	s_cselect_b32 s0, s1, s0
	s_cselect_b32 s33, s45, s33
	s_add_i32 s1, s0, 1
	s_cmp_ge_u32 s33, s46
	s_cselect_b32 s0, s1, s0
	s_mov_b32 s1, s44
	s_branch .LBB0_4
.LBB0_9:
	v_mov_b32_e32 v1, s34
	v_mov_b32_e32 v2, s35
	v_cmp_lt_u64_e32 vcc, s[6:7], v[1:2]
	s_mov_b64 s[24:25], 0
	s_cbranch_vccnz .LBB0_11
; %bb.10:
	v_cvt_f32_u32_e32 v1, s34
	s_sub_i32 s0, 0, s34
	v_rcp_iflag_f32_e32 v1, v1
	v_mul_f32_e32 v1, 0x4f7ffffe, v1
	v_cvt_u32_f32_e32 v1, v1
	v_readfirstlane_b32 s1, v1
	s_mul_i32 s0, s0, s1
	s_mul_hi_u32 s0, s1, s0
	s_add_i32 s1, s1, s0
	s_mul_hi_u32 s0, s6, s1
	s_mul_i32 s7, s0, s34
	s_sub_i32 s6, s6, s7
	s_add_i32 s1, s0, 1
	s_sub_i32 s7, s6, s34
	s_cmp_ge_u32 s6, s34
	s_cselect_b32 s0, s1, s0
	s_cselect_b32 s6, s7, s6
	s_add_i32 s1, s0, 1
	s_cmp_ge_u32 s6, s34
	s_cselect_b32 s24, s1, s0
.LBB0_11:
	s_lshl_b64 s[0:1], s[18:19], 3
	s_add_u32 s2, s2, s0
	s_addc_u32 s3, s3, s1
	s_load_dwordx2 s[2:3], s[2:3], 0x0
	v_and_b32_e32 v52, 7, v0
	v_or_b32_e32 v50, s4, v52
	v_mov_b32_e32 v51, s5
	v_lshrrev_b32_e32 v53, 3, v0
	s_waitcnt lgkmcnt(0)
	s_mul_i32 s3, s3, s24
	s_mul_hi_u32 s6, s2, s24
	s_add_i32 s3, s6, s3
	s_mul_i32 s2, s2, s24
	s_add_u32 s0, s30, s0
	v_mov_b32_e32 v1, s3
	v_add_co_u32_e32 v33, vcc, s2, v4
	s_addc_u32 s1, s31, s1
	v_addc_co_u32_e32 v34, vcc, v1, v3, vcc
	s_load_dwordx2 s[2:3], s[0:1], 0x0
	s_add_u32 s4, s4, 8
	v_mov_b32_e32 v1, s28
	s_addc_u32 s5, s5, 0
	v_mov_b32_e32 v2, s29
	v_cmp_gt_u64_e32 vcc, s[4:5], v[1:2]
	v_cmp_le_u64_e64 s[0:1], s[4:5], v[1:2]
	s_cbranch_vccz .LBB0_17
; %bb.12:
	v_cmp_le_u64_e32 vcc, s[28:29], v[50:51]
                                        ; implicit-def: $vgpr35
	s_and_saveexec_b64 s[4:5], vcc
	s_xor_b64 s[4:5], exec, s[4:5]
; %bb.13:
	v_or_b32_e32 v35, 32, v53
; %bb.14:
	s_or_saveexec_b64 s[4:5], s[4:5]
                                        ; implicit-def: $vgpr1_vgpr2
                                        ; implicit-def: $vgpr25_vgpr26
                                        ; implicit-def: $vgpr29_vgpr30
                                        ; implicit-def: $vgpr17_vgpr18
                                        ; implicit-def: $vgpr21_vgpr22
                                        ; implicit-def: $vgpr9_vgpr10
                                        ; implicit-def: $vgpr13_vgpr14
                                        ; implicit-def: $vgpr5_vgpr6
	s_xor_b64 exec, exec, s[4:5]
	s_cbranch_execz .LBB0_16
; %bb.15:
	v_mad_u64_u32 v[1:2], s[6:7], s22, v52, 0
	v_mad_u64_u32 v[3:4], s[6:7], s20, v53, 0
	v_or_b32_e32 v35, 32, v53
	v_or_b32_e32 v18, 0x60, v53
	v_mad_u64_u32 v[5:6], s[6:7], s23, v52, v[2:3]
	v_mov_b32_e32 v2, v4
	v_mad_u64_u32 v[6:7], s[6:7], s21, v53, v[2:3]
	v_mov_b32_e32 v2, v5
	v_mov_b32_e32 v7, s13
	;; [unrolled: 1-line block ×3, first 2 shown]
	v_lshlrev_b64 v[5:6], 4, v[33:34]
	v_lshlrev_b64 v[1:2], 4, v[1:2]
	v_add_co_u32_e32 v8, vcc, s12, v5
	v_addc_co_u32_e32 v7, vcc, v7, v6, vcc
	v_mad_u64_u32 v[5:6], s[6:7], s20, v35, 0
	v_add_co_u32_e32 v40, vcc, v8, v1
	v_addc_co_u32_e32 v41, vcc, v7, v2, vcc
	v_lshlrev_b64 v[1:2], 4, v[3:4]
	v_mov_b32_e32 v3, v6
	v_mad_u64_u32 v[3:4], s[6:7], s21, v35, v[3:4]
	v_add_co_u32_e32 v9, vcc, v40, v1
	v_mov_b32_e32 v6, v3
	v_or_b32_e32 v3, 64, v53
	v_mad_u64_u32 v[11:12], s[6:7], s20, v3, 0
	v_addc_co_u32_e32 v10, vcc, v41, v2, vcc
	v_lshlrev_b64 v[1:2], 4, v[5:6]
	v_or_b32_e32 v27, 0xa0, v53
	v_add_co_u32_e32 v13, vcc, v40, v1
	v_mov_b32_e32 v1, v12
	v_mad_u64_u32 v[15:16], s[6:7], s21, v3, v[1:2]
	v_mad_u64_u32 v[16:17], s[6:7], s20, v18, 0
	v_mov_b32_e32 v12, v15
	v_addc_co_u32_e32 v14, vcc, v41, v2, vcc
	global_load_dwordx4 v[1:4], v[9:10], off
	global_load_dwordx4 v[5:8], v[13:14], off
	v_lshlrev_b64 v[9:10], 4, v[11:12]
	v_mov_b32_e32 v11, v17
	v_mad_u64_u32 v[11:12], s[6:7], s21, v18, v[11:12]
	v_add_co_u32_e32 v18, vcc, v40, v9
	v_mov_b32_e32 v17, v11
	v_or_b32_e32 v11, 0x80, v53
	v_mad_u64_u32 v[20:21], s[6:7], s20, v11, 0
	v_addc_co_u32_e32 v19, vcc, v41, v10, vcc
	v_lshlrev_b64 v[9:10], 4, v[16:17]
	v_add_co_u32_e32 v22, vcc, v40, v9
	v_mov_b32_e32 v9, v21
	v_mad_u64_u32 v[24:25], s[6:7], s21, v11, v[9:10]
	v_mad_u64_u32 v[25:26], s[6:7], s20, v27, 0
	v_addc_co_u32_e32 v23, vcc, v41, v10, vcc
	global_load_dwordx4 v[13:16], v[18:19], off
	global_load_dwordx4 v[9:12], v[22:23], off
	v_mov_b32_e32 v21, v24
	v_mov_b32_e32 v19, v26
	v_lshlrev_b64 v[17:18], 4, v[20:21]
	v_mad_u64_u32 v[19:20], s[6:7], s21, v27, v[19:20]
	v_add_co_u32_e32 v27, vcc, v40, v17
	v_mov_b32_e32 v26, v19
	v_or_b32_e32 v19, 0xc0, v53
	v_addc_co_u32_e32 v28, vcc, v41, v18, vcc
	v_lshlrev_b64 v[17:18], 4, v[25:26]
	v_mad_u64_u32 v[25:26], s[6:7], s20, v19, 0
	v_add_co_u32_e32 v29, vcc, v40, v17
	v_mov_b32_e32 v17, v26
	v_mad_u64_u32 v[31:32], s[6:7], s21, v19, v[17:18]
	v_or_b32_e32 v32, 0xe0, v53
	v_mad_u64_u32 v[36:37], s[6:7], s20, v32, 0
	v_addc_co_u32_e32 v30, vcc, v41, v18, vcc
	global_load_dwordx4 v[21:24], v[27:28], off
	global_load_dwordx4 v[17:20], v[29:30], off
	v_mov_b32_e32 v27, v37
	v_mad_u64_u32 v[27:28], s[6:7], s21, v32, v[27:28]
	v_mov_b32_e32 v26, v31
	v_lshlrev_b64 v[25:26], 4, v[25:26]
	v_mov_b32_e32 v37, v27
	v_add_co_u32_e32 v38, vcc, v40, v25
	v_addc_co_u32_e32 v39, vcc, v41, v26, vcc
	v_lshlrev_b64 v[25:26], 4, v[36:37]
	v_add_co_u32_e32 v36, vcc, v40, v25
	v_addc_co_u32_e32 v37, vcc, v41, v26, vcc
	global_load_dwordx4 v[29:32], v[38:39], off
	global_load_dwordx4 v[25:28], v[36:37], off
.LBB0_16:
	s_or_b64 exec, exec, s[4:5]
	s_cbranch_execz .LBB0_18
	s_branch .LBB0_19
.LBB0_17:
                                        ; implicit-def: $vgpr1_vgpr2
                                        ; implicit-def: $vgpr25_vgpr26
                                        ; implicit-def: $vgpr29_vgpr30
                                        ; implicit-def: $vgpr17_vgpr18
                                        ; implicit-def: $vgpr21_vgpr22
                                        ; implicit-def: $vgpr35
                                        ; implicit-def: $vgpr9_vgpr10
                                        ; implicit-def: $vgpr13_vgpr14
                                        ; implicit-def: $vgpr5_vgpr6
.LBB0_18:
	s_waitcnt vmcnt(7)
	v_mad_u64_u32 v[1:2], s[4:5], s22, v52, 0
	v_mad_u64_u32 v[3:4], s[4:5], s20, v53, 0
	v_or_b32_e32 v35, 32, v53
	s_waitcnt vmcnt(2)
	v_or_b32_e32 v18, 0x60, v53
	v_mad_u64_u32 v[5:6], s[4:5], s23, v52, v[2:3]
	v_mov_b32_e32 v2, v4
	v_mad_u64_u32 v[6:7], s[4:5], s21, v53, v[2:3]
	v_mov_b32_e32 v2, v5
	v_mov_b32_e32 v7, s13
	;; [unrolled: 1-line block ×3, first 2 shown]
	v_lshlrev_b64 v[5:6], 4, v[33:34]
	v_lshlrev_b64 v[1:2], 4, v[1:2]
	v_add_co_u32_e32 v8, vcc, s12, v5
	v_addc_co_u32_e32 v7, vcc, v7, v6, vcc
	v_mad_u64_u32 v[5:6], s[4:5], s20, v35, 0
	v_add_co_u32_e32 v34, vcc, v8, v1
	v_addc_co_u32_e32 v38, vcc, v7, v2, vcc
	v_lshlrev_b64 v[1:2], 4, v[3:4]
	v_mov_b32_e32 v3, v6
	v_mad_u64_u32 v[3:4], s[4:5], s21, v35, v[3:4]
	v_add_co_u32_e32 v9, vcc, v34, v1
	v_mov_b32_e32 v6, v3
	v_or_b32_e32 v3, 64, v53
	v_mad_u64_u32 v[11:12], s[4:5], s20, v3, 0
	v_addc_co_u32_e32 v10, vcc, v38, v2, vcc
	v_lshlrev_b64 v[1:2], 4, v[5:6]
	s_waitcnt vmcnt(0)
	v_or_b32_e32 v27, 0xa0, v53
	v_add_co_u32_e32 v13, vcc, v34, v1
	v_mov_b32_e32 v1, v12
	v_mad_u64_u32 v[15:16], s[4:5], s21, v3, v[1:2]
	v_mad_u64_u32 v[16:17], s[4:5], s20, v18, 0
	v_mov_b32_e32 v12, v15
	v_addc_co_u32_e32 v14, vcc, v38, v2, vcc
	global_load_dwordx4 v[1:4], v[9:10], off
	global_load_dwordx4 v[5:8], v[13:14], off
	v_lshlrev_b64 v[9:10], 4, v[11:12]
	v_mov_b32_e32 v11, v17
	v_mad_u64_u32 v[11:12], s[4:5], s21, v18, v[11:12]
	v_add_co_u32_e32 v18, vcc, v34, v9
	v_mov_b32_e32 v17, v11
	v_or_b32_e32 v11, 0x80, v53
	v_mad_u64_u32 v[20:21], s[4:5], s20, v11, 0
	v_addc_co_u32_e32 v19, vcc, v38, v10, vcc
	v_lshlrev_b64 v[9:10], 4, v[16:17]
	v_or_b32_e32 v36, 0xe0, v53
	v_add_co_u32_e32 v22, vcc, v34, v9
	v_mov_b32_e32 v9, v21
	v_mad_u64_u32 v[24:25], s[4:5], s21, v11, v[9:10]
	v_mad_u64_u32 v[25:26], s[4:5], s20, v27, 0
	v_addc_co_u32_e32 v23, vcc, v38, v10, vcc
	global_load_dwordx4 v[13:16], v[18:19], off
	global_load_dwordx4 v[9:12], v[22:23], off
	v_mov_b32_e32 v21, v24
	v_mov_b32_e32 v19, v26
	v_lshlrev_b64 v[17:18], 4, v[20:21]
	v_mad_u64_u32 v[19:20], s[4:5], s21, v27, v[19:20]
	v_add_co_u32_e32 v27, vcc, v34, v17
	v_mov_b32_e32 v26, v19
	v_or_b32_e32 v19, 0xc0, v53
	v_addc_co_u32_e32 v28, vcc, v38, v18, vcc
	v_lshlrev_b64 v[17:18], 4, v[25:26]
	v_mad_u64_u32 v[25:26], s[4:5], s20, v19, 0
	v_add_co_u32_e32 v29, vcc, v34, v17
	v_mov_b32_e32 v17, v26
	v_mad_u64_u32 v[31:32], s[4:5], s21, v19, v[17:18]
	v_mad_u64_u32 v[32:33], s[4:5], s20, v36, 0
	v_addc_co_u32_e32 v30, vcc, v38, v18, vcc
	global_load_dwordx4 v[21:24], v[27:28], off
	global_load_dwordx4 v[17:20], v[29:30], off
	v_mov_b32_e32 v27, v33
	v_mad_u64_u32 v[27:28], s[4:5], s21, v36, v[27:28]
	v_mov_b32_e32 v26, v31
	v_lshlrev_b64 v[25:26], 4, v[25:26]
	v_mov_b32_e32 v33, v27
	v_add_co_u32_e32 v36, vcc, v34, v25
	v_addc_co_u32_e32 v37, vcc, v38, v26, vcc
	v_lshlrev_b64 v[25:26], 4, v[32:33]
	v_add_co_u32_e32 v33, vcc, v34, v25
	v_addc_co_u32_e32 v34, vcc, v38, v26, vcc
	global_load_dwordx4 v[29:32], v[36:37], off
	global_load_dwordx4 v[25:28], v[33:34], off
.LBB0_19:
	s_waitcnt vmcnt(3)
	v_add_f64 v[21:22], v[1:2], -v[21:22]
	v_add_f64 v[23:24], v[3:4], -v[23:24]
	s_waitcnt vmcnt(1)
	v_add_f64 v[29:30], v[13:14], -v[29:30]
	v_add_f64 v[31:32], v[15:16], -v[31:32]
	;; [unrolled: 1-line block ×4, first 2 shown]
	s_waitcnt vmcnt(0)
	v_add_f64 v[27:28], v[11:12], -v[27:28]
	v_add_f64 v[25:26], v[9:10], -v[25:26]
	v_fma_f64 v[1:2], v[1:2], 2.0, -v[21:22]
	v_fma_f64 v[3:4], v[3:4], 2.0, -v[23:24]
	;; [unrolled: 1-line block ×8, first 2 shown]
	v_add_f64 v[31:32], v[31:32], v[21:22]
	v_add_f64 v[33:34], v[23:24], -v[29:30]
	v_add_f64 v[27:28], v[17:18], v[27:28]
	v_add_f64 v[25:26], v[19:20], -v[25:26]
	v_add_f64 v[29:30], v[1:2], -v[13:14]
	;; [unrolled: 1-line block ×3, first 2 shown]
	s_mov_b32 s4, 0x667f3bcd
	v_add_f64 v[13:14], v[5:6], -v[9:10]
	v_add_f64 v[9:10], v[7:8], -v[11:12]
	v_fma_f64 v[21:22], v[21:22], 2.0, -v[31:32]
	v_fma_f64 v[23:24], v[23:24], 2.0, -v[33:34]
	v_fma_f64 v[11:12], v[17:18], 2.0, -v[27:28]
	v_fma_f64 v[15:16], v[19:20], 2.0, -v[25:26]
	s_mov_b32 s5, 0xbfe6a09e
	v_fma_f64 v[17:18], v[1:2], 2.0, -v[29:30]
	v_fma_f64 v[19:20], v[3:4], 2.0, -v[36:37]
	;; [unrolled: 1-line block ×4, first 2 shown]
	s_mov_b32 s7, 0x3fe6a09e
	v_fma_f64 v[5:6], v[11:12], s[4:5], v[21:22]
	v_fma_f64 v[7:8], v[15:16], s[4:5], v[23:24]
	s_mov_b32 s6, s4
	v_fma_f64 v[38:39], v[27:28], s[6:7], v[31:32]
	v_fma_f64 v[40:41], v[25:26], s[6:7], v[33:34]
	v_add_f64 v[1:2], v[17:18], -v[1:2]
	v_add_f64 v[3:4], v[19:20], -v[3:4]
	v_add_f64 v[9:10], v[9:10], v[29:30]
	v_fma_f64 v[5:6], v[15:16], s[6:7], v[5:6]
	v_fma_f64 v[7:8], v[11:12], s[4:5], v[7:8]
	v_add_f64 v[11:12], v[36:37], -v[13:14]
	v_fma_f64 v[13:14], v[25:26], s[6:7], v[38:39]
	v_fma_f64 v[15:16], v[27:28], s[4:5], v[40:41]
	v_fma_f64 v[17:18], v[17:18], 2.0, -v[1:2]
	v_fma_f64 v[19:20], v[19:20], 2.0, -v[3:4]
	;; [unrolled: 1-line block ×8, first 2 shown]
	v_lshlrev_b32_e32 v33, 10, v53
	v_lshlrev_b32_e32 v34, 4, v52
	v_add3_u32 v33, 0, v33, v34
	ds_write_b128 v33, v[17:20]
	ds_write_b128 v33, v[21:24] offset:128
	ds_write_b128 v33, v[25:28] offset:256
	;; [unrolled: 1-line block ×7, first 2 shown]
	v_bfe_u32 v12, v0, 3, 3
	v_mul_u32_u24_e32 v0, 3, v12
	v_lshlrev_b32_e32 v13, 4, v0
	s_waitcnt lgkmcnt(0)
	s_barrier
	global_load_dwordx4 v[0:3], v13, s[26:27]
	global_load_dwordx4 v[4:7], v13, s[26:27] offset:16
	global_load_dwordx4 v[8:11], v13, s[26:27] offset:32
	v_lshlrev_b32_e32 v13, 7, v35
	v_lshlrev_b32_e32 v14, 2, v53
	s_movk_i32 s13, 0x60
	v_lshlrev_b32_e32 v15, 2, v35
	s_movk_i32 s18, 0x3e0
	s_movk_i32 s12, 0xfc80
	v_add3_u32 v36, 0, v13, v34
	v_and_or_b32 v13, v14, s13, v12
	v_and_or_b32 v12, v15, s18, v12
	v_mad_i32_i24 v55, v53, s12, v33
	v_lshlrev_b32_e32 v13, 7, v13
	v_lshlrev_b32_e32 v12, 7, v12
	v_cmp_gt_u64_e32 vcc, s[28:29], v[50:51]
	v_add3_u32 v47, 0, v13, v34
	v_add3_u32 v51, 0, v12, v34
	ds_read_b128 v[12:15], v55 offset:8192
	ds_read_b128 v[16:19], v55 offset:12288
	;; [unrolled: 1-line block ×5, first 2 shown]
	ds_read_b128 v[32:35], v55
	ds_read_b128 v[37:40], v55 offset:28672
	ds_read_b128 v[41:44], v36
	s_or_b64 s[0:1], s[0:1], vcc
	s_waitcnt vmcnt(0) lgkmcnt(0)
	s_barrier
	v_mul_f64 v[45:46], v[14:15], v[2:3]
	v_mul_f64 v[56:57], v[12:13], v[2:3]
	;; [unrolled: 1-line block ×12, first 2 shown]
	v_fma_f64 v[12:13], v[12:13], v[0:1], v[45:46]
	v_fma_f64 v[14:15], v[14:15], v[0:1], -v[56:57]
	v_fma_f64 v[16:17], v[16:17], v[0:1], v[58:59]
	v_fma_f64 v[0:1], v[18:19], v[0:1], -v[2:3]
	;; [unrolled: 2-line block ×6, first 2 shown]
	v_add_f64 v[26:27], v[32:33], -v[2:3]
	v_add_f64 v[18:19], v[34:35], -v[18:19]
	;; [unrolled: 1-line block ×8, first 2 shown]
	v_fma_f64 v[24:25], v[32:33], 2.0, -v[26:27]
	v_fma_f64 v[28:29], v[34:35], 2.0, -v[18:19]
	;; [unrolled: 1-line block ×8, first 2 shown]
	v_add_f64 v[0:1], v[26:27], v[10:11]
	v_add_f64 v[2:3], v[18:19], -v[2:3]
	v_add_f64 v[8:9], v[24:25], -v[8:9]
	;; [unrolled: 1-line block ×3, first 2 shown]
	v_add_f64 v[4:5], v[20:21], v[4:5]
	v_add_f64 v[6:7], v[22:23], -v[6:7]
	v_add_f64 v[12:13], v[30:31], -v[14:15]
	;; [unrolled: 1-line block ×3, first 2 shown]
	v_fma_f64 v[16:17], v[26:27], 2.0, -v[0:1]
	v_fma_f64 v[18:19], v[18:19], 2.0, -v[2:3]
	;; [unrolled: 1-line block ×8, first 2 shown]
	ds_write_b128 v47, v[0:3] offset:3072
	ds_write_b128 v47, v[16:19] offset:1024
	;; [unrolled: 1-line block ×3, first 2 shown]
	ds_write_b128 v47, v[24:27]
	ds_write_b128 v51, v[28:31]
	ds_write_b128 v51, v[20:23] offset:1024
	ds_write_b128 v51, v[12:15] offset:2048
	;; [unrolled: 1-line block ×3, first 2 shown]
	s_waitcnt lgkmcnt(0)
	s_barrier
	s_and_saveexec_b64 s[12:13], s[0:1]
	s_cbranch_execz .LBB0_21
; %bb.20:
	v_mul_u32_u24_e32 v0, 7, v53
	v_lshlrev_b32_e32 v24, 4, v0
	global_load_dwordx4 v[0:3], v24, s[26:27] offset:384
	global_load_dwordx4 v[12:15], v24, s[26:27] offset:448
	;; [unrolled: 1-line block ×6, first 2 shown]
	v_or_b32_e32 v51, 0xe0, v53
	global_load_dwordx4 v[24:27], v24, s[26:27] offset:464
	v_mul_lo_u32 v62, v50, v51
	v_mov_b32_e32 v60, 4
	v_mov_b32_e32 v61, 0x1000
	v_or_b32_e32 v54, 0xc0, v53
	v_bfe_u32 v28, v62, 8, 8
	v_lshlrev_b32_sdwa v37, v60, v62 dst_sel:DWORD dst_unused:UNUSED_PAD src0_sel:DWORD src1_sel:BYTE_0
	v_lshl_or_b32 v38, v28, 4, v61
	global_load_dwordx4 v[28:31], v37, s[16:17]
	global_load_dwordx4 v[32:35], v38, s[16:17]
	v_mul_lo_u32 v121, v50, v54
	v_or_b32_e32 v56, 0xa0, v53
	ds_read_b128 v[63:66], v36
	ds_read_b128 v[44:47], v55 offset:28672
	ds_read_b128 v[67:70], v55 offset:12288
	;; [unrolled: 1-line block ×6, first 2 shown]
	ds_read_b128 v[79:82], v55
	v_mul_lo_u32 v55, v50, v56
	v_lshlrev_b32_sdwa v91, v60, v121 dst_sel:DWORD dst_unused:UNUSED_PAD src0_sel:DWORD src1_sel:BYTE_0
	v_bfe_u32 v83, v121, 8, 8
	v_lshl_or_b32 v92, v83, 4, v61
	global_load_dwordx4 v[83:86], v91, s[16:17]
	global_load_dwordx4 v[87:90], v92, s[16:17]
	v_bfe_u32 v91, v55, 8, 8
	v_lshlrev_b32_sdwa v99, v60, v55 dst_sel:DWORD dst_unused:UNUSED_PAD src0_sel:DWORD src1_sel:BYTE_0
	v_bfe_u32 v113, v62, 16, 8
	v_lshl_or_b32 v62, v91, 4, v61
	global_load_dwordx4 v[91:94], v99, s[16:17]
	global_load_dwordx4 v[95:98], v62, s[16:17]
	v_or_b32_e32 v57, 0x80, v53
	v_or_b32_e32 v58, 0x60, v53
	v_mul_lo_u32 v130, v50, v57
	v_mul_lo_u32 v131, v50, v58
	v_or_b32_e32 v59, 64, v53
	v_mul_lo_u32 v132, v50, v59
	v_lshlrev_b32_sdwa v109, v60, v130 dst_sel:DWORD dst_unused:UNUSED_PAD src0_sel:DWORD src1_sel:BYTE_0
	v_bfe_u32 v100, v130, 8, 8
	v_bfe_u32 v101, v131, 8, 8
	v_lshlrev_b32_sdwa v102, v60, v131 dst_sel:DWORD dst_unused:UNUSED_PAD src0_sel:DWORD src1_sel:BYTE_0
	v_lshl_or_b32 v110, v100, 4, v61
	v_lshl_or_b32 v115, v101, 4, v61
	global_load_dwordx4 v[99:102], v102, s[16:17]
	v_bfe_u32 v105, v132, 8, 8
	v_lshl_or_b32 v120, v105, 4, v61
	v_mov_b32_e32 v129, 0x2000
	v_lshl_or_b32 v122, v113, 4, v129
	v_lshlrev_b32_sdwa v119, v60, v132 dst_sel:DWORD dst_unused:UNUSED_PAD src0_sel:DWORD src1_sel:BYTE_0
	v_or_b32_e32 v133, 32, v53
	s_waitcnt vmcnt(13) lgkmcnt(7)
	v_mul_f64 v[103:104], v[63:64], v[2:3]
	v_mul_f64 v[2:3], v[65:66], v[2:3]
	s_waitcnt vmcnt(12) lgkmcnt(3)
	v_mul_f64 v[105:106], v[71:72], v[14:15]
	v_mul_f64 v[14:15], v[73:74], v[14:15]
	s_waitcnt vmcnt(11)
	v_mul_f64 v[111:112], v[67:68], v[10:11]
	v_fma_f64 v[103:104], v[65:66], v[0:1], -v[103:104]
	v_fma_f64 v[107:108], v[63:64], v[0:1], v[2:3]
	global_load_dwordx4 v[0:3], v109, s[16:17]
	global_load_dwordx4 v[62:65], v110, s[16:17]
	v_mul_f64 v[109:110], v[69:70], v[10:11]
	v_fma_f64 v[105:106], v[73:74], v[12:13], -v[105:106]
	v_fma_f64 v[113:114], v[71:72], v[12:13], v[14:15]
	global_load_dwordx4 v[10:13], v115, s[16:17]
	s_waitcnt vmcnt(13)
	v_mul_f64 v[14:15], v[46:47], v[6:7]
	v_mul_f64 v[6:7], v[44:45], v[6:7]
	v_fma_f64 v[111:112], v[69:70], v[8:9], -v[111:112]
	s_waitcnt vmcnt(11) lgkmcnt(1)
	v_mul_f64 v[70:71], v[77:78], v[22:23]
	v_fma_f64 v[109:110], v[67:68], v[8:9], v[109:110]
	v_mul_f64 v[8:9], v[40:41], v[18:19]
	v_mul_f64 v[18:19], v[42:43], v[18:19]
	;; [unrolled: 1-line block ×3, first 2 shown]
	v_fma_f64 v[115:116], v[44:45], v[4:5], v[14:15]
	v_fma_f64 v[117:118], v[46:47], v[4:5], -v[6:7]
	global_load_dwordx4 v[4:7], v119, s[16:17]
	global_load_dwordx4 v[44:47], v120, s[16:17]
	;; [unrolled: 1-line block ×3, first 2 shown]
	v_fma_f64 v[74:75], v[75:76], v[20:21], v[70:71]
	v_bfe_u32 v14, v121, 16, 8
	v_fma_f64 v[42:43], v[42:43], v[16:17], -v[8:9]
	s_waitcnt vmcnt(13)
	v_mul_f64 v[8:9], v[38:39], v[26:27]
	v_fma_f64 v[119:120], v[40:41], v[16:17], v[18:19]
	v_mul_f64 v[18:19], v[36:37], v[26:27]
	v_fma_f64 v[76:77], v[77:78], v[20:21], -v[22:23]
	v_mul_lo_u32 v78, v50, v133
	v_lshl_or_b32 v14, v14, 4, v129
	global_load_dwordx4 v[14:17], v14, s[16:17]
	s_waitcnt vmcnt(12)
	v_mul_f64 v[26:27], v[30:31], v[34:35]
	v_fma_f64 v[121:122], v[36:37], v[24:25], v[8:9]
	v_bfe_u32 v8, v78, 8, 8
	v_lshlrev_b32_sdwa v9, v60, v78 dst_sel:DWORD dst_unused:UNUSED_PAD src0_sel:DWORD src1_sel:BYTE_0
	v_mul_f64 v[34:35], v[28:29], v[34:35]
	v_fma_f64 v[123:124], v[38:39], v[24:25], -v[18:19]
	v_lshl_or_b32 v8, v8, 4, v61
	global_load_dwordx4 v[18:21], v9, s[16:17]
	global_load_dwordx4 v[22:25], v8, s[16:17]
	v_mul_lo_u32 v50, v50, v53
	v_fma_f64 v[125:126], v[28:29], v[32:33], -v[26:27]
	s_waitcnt vmcnt(10)
	v_mul_f64 v[70:71], v[91:92], v[97:98]
	s_waitcnt lgkmcnt(0)
	v_add_f64 v[42:43], v[81:82], -v[42:43]
	v_bfe_u32 v8, v50, 8, 8
	v_lshlrev_b32_sdwa v9, v60, v50 dst_sel:DWORD dst_unused:UNUSED_PAD src0_sel:DWORD src1_sel:BYTE_0
	v_fma_f64 v[127:128], v[30:31], v[32:33], v[34:35]
	v_lshl_or_b32 v8, v8, 4, v61
	global_load_dwordx4 v[26:29], v9, s[16:17]
	global_load_dwordx4 v[30:33], v8, s[16:17]
	v_mul_f64 v[8:9], v[85:86], v[89:90]
	v_mul_f64 v[34:35], v[83:84], v[89:90]
	v_fma_f64 v[60:61], v[83:84], v[87:88], -v[8:9]
	v_bfe_u32 v8, v55, 16, 8
	v_bfe_u32 v55, v131, 16, 8
	v_lshl_or_b32 v8, v8, 4, v129
	v_lshl_or_b32 v55, v55, 4, v129
	v_fma_f64 v[83:84], v[85:86], v[87:88], v[34:35]
	global_load_dwordx4 v[34:37], v8, s[16:17]
	v_fma_f64 v[87:88], v[93:94], v[95:96], v[70:71]
	global_load_dwordx4 v[70:73], v55, s[16:17]
	v_bfe_u32 v8, v130, 16, 8
	v_lshl_or_b32 v8, v8, 4, v129
	global_load_dwordx4 v[38:41], v8, s[16:17]
	v_mul_f64 v[8:9], v[93:94], v[97:98]
	v_fma_f64 v[85:86], v[91:92], v[95:96], -v[8:9]
	v_add_f64 v[95:96], v[74:75], -v[121:122]
	v_fma_f64 v[74:75], v[74:75], 2.0, -v[95:96]
	s_waitcnt vmcnt(12)
	v_mul_f64 v[8:9], v[2:3], v[64:65]
	v_mul_f64 v[64:65], v[0:1], v[64:65]
	v_fma_f64 v[89:90], v[0:1], v[62:63], -v[8:9]
	v_bfe_u32 v0, v132, 16, 8
	v_lshl_or_b32 v0, v0, 4, v129
	v_fma_f64 v[62:63], v[2:3], v[62:63], v[64:65]
	global_load_dwordx4 v[0:3], v0, s[16:17]
	s_waitcnt vmcnt(12)
	v_mul_f64 v[8:9], v[101:102], v[12:13]
	v_mul_f64 v[12:13], v[99:100], v[12:13]
	v_fma_f64 v[64:65], v[99:100], v[10:11], -v[8:9]
	s_waitcnt vmcnt(10)
	v_mul_f64 v[8:9], v[6:7], v[46:47]
	v_fma_f64 v[12:13], v[101:102], v[10:11], v[12:13]
	v_mul_f64 v[10:11], v[4:5], v[46:47]
	v_fma_f64 v[46:47], v[4:5], v[44:45], -v[8:9]
	v_bfe_u32 v4, v78, 16, 8
	v_lshl_or_b32 v4, v4, 4, v129
	v_fma_f64 v[44:45], v[6:7], v[44:45], v[10:11]
	global_load_dwordx4 v[4:7], v4, s[16:17]
	s_waitcnt vmcnt(7)
	v_mul_f64 v[91:92], v[20:21], v[24:25]
	v_mul_f64 v[24:25], v[18:19], v[24:25]
	v_bfe_u32 v8, v50, 16, 8
	v_lshl_or_b32 v8, v8, 4, v129
	global_load_dwordx4 v[8:11], v8, s[16:17]
	v_fma_f64 v[91:92], v[18:19], v[22:23], -v[91:92]
	v_fma_f64 v[24:25], v[20:21], v[22:23], v[24:25]
	s_waitcnt vmcnt(6)
	v_mul_f64 v[18:19], v[28:29], v[32:33]
	v_mul_f64 v[20:21], v[26:27], v[32:33]
	;; [unrolled: 1-line block ×6, first 2 shown]
	v_fma_f64 v[93:94], v[26:27], v[30:31], -v[18:19]
	v_fma_f64 v[26:27], v[28:29], v[30:31], v[20:21]
	v_fma_f64 v[18:19], v[66:67], v[125:126], -v[22:23]
	v_fma_f64 v[20:21], v[66:67], v[127:128], v[32:33]
	v_fma_f64 v[22:23], v[14:15], v[60:61], -v[68:69]
	v_add_f64 v[28:29], v[107:108], -v[113:114]
	v_add_f64 v[30:31], v[111:112], -v[117:118]
	;; [unrolled: 1-line block ×6, first 2 shown]
	s_waitcnt vmcnt(5)
	v_mul_f64 v[97:98], v[87:88], v[36:37]
	v_mul_f64 v[36:37], v[85:86], v[36:37]
	s_waitcnt vmcnt(3)
	v_mul_f64 v[99:100], v[62:63], v[40:41]
	v_mul_f64 v[40:41], v[89:90], v[40:41]
	v_add_f64 v[101:102], v[28:29], v[30:31]
	v_add_f64 v[105:106], v[32:33], v[60:61]
	v_add_f64 v[115:116], v[42:43], -v[95:96]
	v_add_f64 v[113:114], v[66:67], -v[68:69]
	v_fma_f64 v[16:17], v[14:15], v[83:84], v[16:17]
	v_fma_f64 v[83:84], v[34:35], v[85:86], -v[97:98]
	v_fma_f64 v[34:35], v[34:35], v[87:88], v[36:37]
	v_fma_f64 v[36:37], v[38:39], v[89:90], -v[99:100]
	v_fma_f64 v[38:39], v[38:39], v[62:63], v[40:41]
	v_fma_f64 v[40:41], v[101:102], s[6:7], v[105:106]
	v_fma_f64 v[60:61], v[76:77], 2.0, -v[60:61]
	v_fma_f64 v[62:63], v[113:114], s[6:7], v[115:116]
	v_fma_f64 v[68:69], v[109:110], 2.0, -v[68:69]
	v_fma_f64 v[76:77], v[81:82], 2.0, -v[42:43]
	;; [unrolled: 1-line block ×6, first 2 shown]
	v_mul_f64 v[14:15], v[64:65], v[72:73]
	v_fma_f64 v[40:41], v[113:114], s[6:7], v[40:41]
	v_fma_f64 v[62:63], v[101:102], s[4:5], v[62:63]
	v_mul_f64 v[72:73], v[12:13], v[72:73]
	v_add_f64 v[60:61], v[76:77], -v[60:61]
	v_add_f64 v[74:75], v[78:79], -v[74:75]
	;; [unrolled: 1-line block ×4, first 2 shown]
	v_fma_f64 v[87:88], v[70:71], v[12:13], v[14:15]
	v_mul_f64 v[12:13], v[40:41], v[20:21]
	v_mul_f64 v[20:21], v[62:63], v[20:21]
	v_fma_f64 v[89:90], v[105:106], 2.0, -v[40:41]
	v_fma_f64 v[64:65], v[70:71], v[64:65], -v[72:73]
	s_waitcnt vmcnt(2)
	v_mul_f64 v[70:71], v[46:47], v[2:3]
	v_add_f64 v[72:73], v[74:75], v[30:31]
	v_add_f64 v[97:98], v[60:61], -v[68:69]
	v_fma_f64 v[95:96], v[115:116], 2.0, -v[62:63]
	v_fma_f64 v[14:15], v[62:63], v[18:19], -v[12:13]
	v_fma_f64 v[12:13], v[40:41], v[18:19], v[20:21]
	v_mul_f64 v[18:19], v[89:90], v[87:88]
	v_mul_f64 v[2:3], v[44:45], v[2:3]
	v_fma_f64 v[40:41], v[0:1], v[44:45], v[70:71]
	v_fma_f64 v[44:45], v[74:75], 2.0, -v[72:73]
	v_fma_f64 v[62:63], v[60:61], 2.0, -v[97:98]
	;; [unrolled: 1-line block ×4, first 2 shown]
	v_mul_f64 v[20:21], v[95:96], v[87:88]
	v_fma_f64 v[42:43], v[42:43], 2.0, -v[115:116]
	v_fma_f64 v[66:67], v[66:67], 2.0, -v[113:114]
	v_fma_f64 v[46:47], v[0:1], v[46:47], -v[2:3]
	v_mul_f64 v[87:88], v[44:45], v[40:41]
	v_mul_f64 v[40:41], v[62:63], v[40:41]
	v_fma_f64 v[2:3], v[95:96], v[64:65], -v[18:19]
	v_fma_f64 v[95:96], v[28:29], s[4:5], v[32:33]
	v_mul_f64 v[70:71], v[72:73], v[16:17]
	v_mul_f64 v[16:17], v[97:98], v[16:17]
	v_fma_f64 v[99:100], v[66:67], s[4:5], v[42:43]
	v_fma_f64 v[0:1], v[89:90], v[64:65], v[20:21]
	v_fma_f64 v[30:31], v[80:81], 2.0, -v[30:31]
	v_fma_f64 v[20:21], v[44:45], v[46:47], v[40:41]
	s_waitcnt vmcnt(1)
	v_mul_f64 v[40:41], v[91:92], v[6:7]
	v_fma_f64 v[44:45], v[66:67], s[6:7], v[95:96]
	v_fma_f64 v[18:19], v[97:98], v[22:23], -v[70:71]
	v_fma_f64 v[16:17], v[72:73], v[22:23], v[16:17]
	v_fma_f64 v[22:23], v[62:63], v[46:47], -v[87:88]
	v_fma_f64 v[28:29], v[28:29], s[4:5], v[99:100]
	v_fma_f64 v[46:47], v[76:77], 2.0, -v[60:61]
	v_mul_f64 v[6:7], v[24:25], v[6:7]
	v_fma_f64 v[60:61], v[78:79], 2.0, -v[74:75]
	v_fma_f64 v[62:63], v[85:86], 2.0, -v[68:69]
	v_fma_f64 v[24:25], v[4:5], v[24:25], v[40:41]
	v_mul_f64 v[40:41], v[44:45], v[34:35]
	v_fma_f64 v[32:33], v[32:33], 2.0, -v[44:45]
	v_fma_f64 v[42:43], v[42:43], 2.0, -v[28:29]
	v_add_f64 v[30:31], v[46:47], -v[30:31]
	v_fma_f64 v[64:65], v[4:5], v[91:92], -v[6:7]
	s_waitcnt vmcnt(0)
	v_mul_f64 v[4:5], v[93:94], v[10:11]
	v_add_f64 v[62:63], v[60:61], -v[62:63]
	v_mul_f64 v[34:35], v[28:29], v[34:35]
	v_fma_f64 v[6:7], v[28:29], v[83:84], -v[40:41]
	v_mul_f64 v[28:29], v[32:33], v[24:25]
	v_mul_f64 v[24:25], v[42:43], v[24:25]
	;; [unrolled: 1-line block ×3, first 2 shown]
	v_fma_f64 v[40:41], v[8:9], v[26:27], v[4:5]
	v_mul_f64 v[66:67], v[62:63], v[38:39]
	v_mul_f64 v[38:39], v[30:31], v[38:39]
	v_fma_f64 v[60:61], v[60:61], 2.0, -v[62:63]
	v_fma_f64 v[26:27], v[42:43], v[64:65], -v[28:29]
	v_fma_f64 v[28:29], v[46:47], 2.0, -v[30:31]
	v_fma_f64 v[24:25], v[32:33], v[64:65], v[24:25]
	v_fma_f64 v[32:33], v[8:9], v[93:94], -v[10:11]
	v_fma_f64 v[4:5], v[44:45], v[83:84], v[34:35]
	v_fma_f64 v[10:11], v[30:31], v[36:37], -v[66:67]
	v_fma_f64 v[8:9], v[62:63], v[36:37], v[38:39]
	v_mad_u64_u32 v[34:35], s[0:1], s10, v52, 0
	v_mul_f64 v[36:37], v[28:29], v[40:41]
	v_mad_u64_u32 v[38:39], s[0:1], s8, v53, 0
	v_mul_f64 v[30:31], v[60:61], v[40:41]
	v_mad_u64_u32 v[40:41], s[0:1], s11, v52, v[35:36]
	v_mov_b32_e32 v35, v39
	v_mad_u64_u32 v[41:42], s[0:1], s9, v53, v[35:36]
	s_mul_i32 s0, s3, s24
	s_mul_hi_u32 s1, s2, s24
	s_add_i32 s1, s1, s0
	s_mul_i32 s0, s2, s24
	s_lshl_b64 s[0:1], s[0:1], 4
	v_fma_f64 v[30:31], v[28:29], v[32:33], -v[30:31]
	v_fma_f64 v[28:29], v[60:61], v[32:33], v[36:37]
	s_add_u32 s0, s14, s0
	v_lshlrev_b64 v[32:33], 4, v[48:49]
	s_addc_u32 s1, s15, s1
	v_mov_b32_e32 v35, v40
	v_mov_b32_e32 v36, s1
	v_add_co_u32_e32 v37, vcc, s0, v32
	v_addc_co_u32_e32 v36, vcc, v36, v33, vcc
	v_lshlrev_b64 v[32:33], 4, v[34:35]
	v_mov_b32_e32 v39, v41
	v_add_co_u32_e32 v37, vcc, v37, v32
	v_mad_u64_u32 v[34:35], s[0:1], s8, v133, 0
	v_addc_co_u32_e32 v40, vcc, v36, v33, vcc
	v_lshlrev_b64 v[32:33], 4, v[38:39]
	v_mad_u64_u32 v[35:36], s[0:1], s9, v133, v[35:36]
	v_add_co_u32_e32 v32, vcc, v37, v32
	v_addc_co_u32_e32 v33, vcc, v40, v33, vcc
	global_store_dwordx4 v[32:33], v[28:31], off
	s_nop 0
	v_mad_u64_u32 v[30:31], s[0:1], s8, v59, 0
	v_lshlrev_b64 v[28:29], 4, v[34:35]
	v_mad_u64_u32 v[31:32], s[0:1], s9, v59, v[31:32]
	v_add_co_u32_e32 v28, vcc, v37, v28
	v_addc_co_u32_e32 v29, vcc, v40, v29, vcc
	v_mad_u64_u32 v[32:33], s[0:1], s8, v58, 0
	global_store_dwordx4 v[28:29], v[24:27], off
	s_nop 0
	v_lshlrev_b64 v[24:25], 4, v[30:31]
	v_mov_b32_e32 v26, v33
	v_add_co_u32_e32 v24, vcc, v37, v24
	v_addc_co_u32_e32 v25, vcc, v40, v25, vcc
	v_mad_u64_u32 v[26:27], s[0:1], s9, v58, v[26:27]
	global_store_dwordx4 v[24:25], v[20:23], off
	v_mov_b32_e32 v33, v26
	v_mad_u64_u32 v[22:23], s[0:1], s8, v57, 0
	v_lshlrev_b64 v[20:21], 4, v[32:33]
	v_mad_u64_u32 v[23:24], s[0:1], s9, v57, v[23:24]
	v_mad_u64_u32 v[24:25], s[0:1], s8, v56, 0
	v_add_co_u32_e32 v20, vcc, v37, v20
	v_addc_co_u32_e32 v21, vcc, v40, v21, vcc
	global_store_dwordx4 v[20:21], v[0:3], off
	s_nop 0
	v_mov_b32_e32 v2, v25
	v_mad_u64_u32 v[2:3], s[0:1], s9, v56, v[2:3]
	v_lshlrev_b64 v[0:1], 4, v[22:23]
	v_mov_b32_e32 v25, v2
	v_mad_u64_u32 v[2:3], s[0:1], s8, v54, 0
	v_add_co_u32_e32 v0, vcc, v37, v0
	v_addc_co_u32_e32 v1, vcc, v40, v1, vcc
	global_store_dwordx4 v[0:1], v[8:11], off
	v_lshlrev_b64 v[0:1], 4, v[24:25]
	v_mad_u64_u32 v[8:9], s[0:1], s9, v54, v[3:4]
	v_mad_u64_u32 v[9:10], s[0:1], s8, v51, 0
	v_add_co_u32_e32 v0, vcc, v37, v0
	v_addc_co_u32_e32 v1, vcc, v40, v1, vcc
	v_mov_b32_e32 v3, v8
	global_store_dwordx4 v[0:1], v[4:7], off
	v_lshlrev_b64 v[0:1], 4, v[2:3]
	v_mov_b32_e32 v2, v10
	v_mad_u64_u32 v[2:3], s[0:1], s9, v51, v[2:3]
	v_add_co_u32_e32 v0, vcc, v37, v0
	v_addc_co_u32_e32 v1, vcc, v40, v1, vcc
	v_mov_b32_e32 v10, v2
	global_store_dwordx4 v[0:1], v[16:19], off
	v_lshlrev_b64 v[0:1], 4, v[9:10]
	v_add_co_u32_e32 v0, vcc, v37, v0
	v_addc_co_u32_e32 v1, vcc, v40, v1, vcc
	global_store_dwordx4 v[0:1], v[12:15], off
.LBB0_21:
	s_endpgm
	.section	.rodata,"a",@progbits
	.p2align	6, 0x0
	.amdhsa_kernel fft_rtc_back_len256_factors_8_4_8_wgs_256_tpt_32_dp_op_CI_CI_sbcc_twdbase8_3step_dirReg
		.amdhsa_group_segment_fixed_size 0
		.amdhsa_private_segment_fixed_size 0
		.amdhsa_kernarg_size 112
		.amdhsa_user_sgpr_count 6
		.amdhsa_user_sgpr_private_segment_buffer 1
		.amdhsa_user_sgpr_dispatch_ptr 0
		.amdhsa_user_sgpr_queue_ptr 0
		.amdhsa_user_sgpr_kernarg_segment_ptr 1
		.amdhsa_user_sgpr_dispatch_id 0
		.amdhsa_user_sgpr_flat_scratch_init 0
		.amdhsa_user_sgpr_private_segment_size 0
		.amdhsa_uses_dynamic_stack 0
		.amdhsa_system_sgpr_private_segment_wavefront_offset 0
		.amdhsa_system_sgpr_workgroup_id_x 1
		.amdhsa_system_sgpr_workgroup_id_y 0
		.amdhsa_system_sgpr_workgroup_id_z 0
		.amdhsa_system_sgpr_workgroup_info 0
		.amdhsa_system_vgpr_workitem_id 0
		.amdhsa_next_free_vgpr 134
		.amdhsa_next_free_sgpr 53
		.amdhsa_reserve_vcc 1
		.amdhsa_reserve_flat_scratch 0
		.amdhsa_float_round_mode_32 0
		.amdhsa_float_round_mode_16_64 0
		.amdhsa_float_denorm_mode_32 3
		.amdhsa_float_denorm_mode_16_64 3
		.amdhsa_dx10_clamp 1
		.amdhsa_ieee_mode 1
		.amdhsa_fp16_overflow 0
		.amdhsa_exception_fp_ieee_invalid_op 0
		.amdhsa_exception_fp_denorm_src 0
		.amdhsa_exception_fp_ieee_div_zero 0
		.amdhsa_exception_fp_ieee_overflow 0
		.amdhsa_exception_fp_ieee_underflow 0
		.amdhsa_exception_fp_ieee_inexact 0
		.amdhsa_exception_int_div_zero 0
	.end_amdhsa_kernel
	.text
.Lfunc_end0:
	.size	fft_rtc_back_len256_factors_8_4_8_wgs_256_tpt_32_dp_op_CI_CI_sbcc_twdbase8_3step_dirReg, .Lfunc_end0-fft_rtc_back_len256_factors_8_4_8_wgs_256_tpt_32_dp_op_CI_CI_sbcc_twdbase8_3step_dirReg
                                        ; -- End function
	.section	.AMDGPU.csdata,"",@progbits
; Kernel info:
; codeLenInByte = 6416
; NumSgprs: 57
; NumVgprs: 134
; ScratchSize: 0
; MemoryBound: 1
; FloatMode: 240
; IeeeMode: 1
; LDSByteSize: 0 bytes/workgroup (compile time only)
; SGPRBlocks: 7
; VGPRBlocks: 33
; NumSGPRsForWavesPerEU: 57
; NumVGPRsForWavesPerEU: 134
; Occupancy: 1
; WaveLimiterHint : 1
; COMPUTE_PGM_RSRC2:SCRATCH_EN: 0
; COMPUTE_PGM_RSRC2:USER_SGPR: 6
; COMPUTE_PGM_RSRC2:TRAP_HANDLER: 0
; COMPUTE_PGM_RSRC2:TGID_X_EN: 1
; COMPUTE_PGM_RSRC2:TGID_Y_EN: 0
; COMPUTE_PGM_RSRC2:TGID_Z_EN: 0
; COMPUTE_PGM_RSRC2:TIDIG_COMP_CNT: 0
	.type	__hip_cuid_2505c0c6e0c55075,@object ; @__hip_cuid_2505c0c6e0c55075
	.section	.bss,"aw",@nobits
	.globl	__hip_cuid_2505c0c6e0c55075
__hip_cuid_2505c0c6e0c55075:
	.byte	0                               ; 0x0
	.size	__hip_cuid_2505c0c6e0c55075, 1

	.ident	"AMD clang version 19.0.0git (https://github.com/RadeonOpenCompute/llvm-project roc-6.4.0 25133 c7fe45cf4b819c5991fe208aaa96edf142730f1d)"
	.section	".note.GNU-stack","",@progbits
	.addrsig
	.addrsig_sym __hip_cuid_2505c0c6e0c55075
	.amdgpu_metadata
---
amdhsa.kernels:
  - .args:
      - .actual_access:  read_only
        .address_space:  global
        .offset:         0
        .size:           8
        .value_kind:     global_buffer
      - .address_space:  global
        .offset:         8
        .size:           8
        .value_kind:     global_buffer
      - .offset:         16
        .size:           8
        .value_kind:     by_value
      - .actual_access:  read_only
        .address_space:  global
        .offset:         24
        .size:           8
        .value_kind:     global_buffer
      - .actual_access:  read_only
        .address_space:  global
        .offset:         32
        .size:           8
        .value_kind:     global_buffer
      - .actual_access:  read_only
        .address_space:  global
        .offset:         40
        .size:           8
        .value_kind:     global_buffer
      - .offset:         48
        .size:           8
        .value_kind:     by_value
      - .actual_access:  read_only
        .address_space:  global
        .offset:         56
        .size:           8
        .value_kind:     global_buffer
      - .actual_access:  read_only
        .address_space:  global
        .offset:         64
        .size:           8
        .value_kind:     global_buffer
      - .offset:         72
        .size:           4
        .value_kind:     by_value
      - .actual_access:  read_only
        .address_space:  global
        .offset:         80
        .size:           8
        .value_kind:     global_buffer
      - .actual_access:  read_only
        .address_space:  global
        .offset:         88
        .size:           8
        .value_kind:     global_buffer
      - .actual_access:  read_only
        .address_space:  global
        .offset:         96
        .size:           8
        .value_kind:     global_buffer
      - .actual_access:  write_only
        .address_space:  global
        .offset:         104
        .size:           8
        .value_kind:     global_buffer
    .group_segment_fixed_size: 0
    .kernarg_segment_align: 8
    .kernarg_segment_size: 112
    .language:       OpenCL C
    .language_version:
      - 2
      - 0
    .max_flat_workgroup_size: 256
    .name:           fft_rtc_back_len256_factors_8_4_8_wgs_256_tpt_32_dp_op_CI_CI_sbcc_twdbase8_3step_dirReg
    .private_segment_fixed_size: 0
    .sgpr_count:     57
    .sgpr_spill_count: 0
    .symbol:         fft_rtc_back_len256_factors_8_4_8_wgs_256_tpt_32_dp_op_CI_CI_sbcc_twdbase8_3step_dirReg.kd
    .uniform_work_group_size: 1
    .uses_dynamic_stack: false
    .vgpr_count:     134
    .vgpr_spill_count: 0
    .wavefront_size: 64
amdhsa.target:   amdgcn-amd-amdhsa--gfx906
amdhsa.version:
  - 1
  - 2
...

	.end_amdgpu_metadata
